;; amdgpu-corpus repo=ROCm/rocFFT kind=compiled arch=gfx906 opt=O3
	.text
	.amdgcn_target "amdgcn-amd-amdhsa--gfx906"
	.amdhsa_code_object_version 6
	.protected	fft_rtc_back_len280_factors_8_5_7_wgs_392_tpt_56_dp_ip_CI_sbcc_twdbase5_3step_dirReg_intrinsicRead ; -- Begin function fft_rtc_back_len280_factors_8_5_7_wgs_392_tpt_56_dp_ip_CI_sbcc_twdbase5_3step_dirReg_intrinsicRead
	.globl	fft_rtc_back_len280_factors_8_5_7_wgs_392_tpt_56_dp_ip_CI_sbcc_twdbase5_3step_dirReg_intrinsicRead
	.p2align	8
	.type	fft_rtc_back_len280_factors_8_5_7_wgs_392_tpt_56_dp_ip_CI_sbcc_twdbase5_3step_dirReg_intrinsicRead,@function
fft_rtc_back_len280_factors_8_5_7_wgs_392_tpt_56_dp_ip_CI_sbcc_twdbase5_3step_dirReg_intrinsicRead: ; @fft_rtc_back_len280_factors_8_5_7_wgs_392_tpt_56_dp_ip_CI_sbcc_twdbase5_3step_dirReg_intrinsicRead
; %bb.0:
	s_load_dwordx8 s[8:15], s[4:5], 0x8
	s_movk_i32 s0, 0x60
	v_cmp_gt_u32_e32 vcc, s0, v0
	s_and_saveexec_b64 s[0:1], vcc
	s_cbranch_execz .LBB0_2
; %bb.1:
	v_lshlrev_b32_e32 v5, 4, v0
	s_waitcnt lgkmcnt(0)
	global_load_dwordx4 v[1:4], v5, s[8:9]
	v_add_u32_e32 v5, 0, v5
	v_add_u32_e32 v5, 0x7a80, v5
	s_waitcnt vmcnt(0)
	ds_write2_b64 v5, v[1:2], v[3:4] offset1:1
.LBB0_2:
	s_or_b64 exec, exec, s[0:1]
	s_waitcnt lgkmcnt(0)
	s_load_dwordx2 s[22:23], s[12:13], 0x8
	s_mov_b32 s7, 0
	s_mov_b64 s[24:25], 0
	s_waitcnt lgkmcnt(0)
	s_add_u32 s0, s22, -1
	s_addc_u32 s1, s23, -1
	s_add_u32 s2, 0, 0x92481000
	s_addc_u32 s3, 0, 0x64
	s_mul_hi_u32 s9, s2, -7
	s_add_i32 s3, s3, 0x249248c0
	s_sub_i32 s9, s9, s2
	s_mul_i32 s18, s3, -7
	s_mul_i32 s8, s2, -7
	s_add_i32 s9, s9, s18
	s_mul_hi_u32 s16, s3, s8
	s_mul_i32 s17, s3, s8
	s_mul_i32 s19, s2, s9
	s_mul_hi_u32 s8, s2, s8
	s_mul_hi_u32 s18, s2, s9
	s_add_u32 s8, s8, s19
	s_addc_u32 s18, 0, s18
	s_add_u32 s8, s8, s17
	s_mul_hi_u32 s19, s3, s9
	s_addc_u32 s8, s18, s16
	s_addc_u32 s16, s19, 0
	s_mul_i32 s9, s3, s9
	s_add_u32 s8, s8, s9
	v_mov_b32_e32 v1, s8
	s_addc_u32 s9, 0, s16
	v_add_co_u32_e32 v1, vcc, s2, v1
	s_cmp_lg_u64 vcc, 0
	s_addc_u32 s2, s3, s9
	v_readfirstlane_b32 s9, v1
	s_mul_i32 s8, s0, s2
	s_mul_hi_u32 s16, s0, s9
	s_mul_hi_u32 s3, s0, s2
	s_add_u32 s8, s16, s8
	s_addc_u32 s3, 0, s3
	s_mul_hi_u32 s17, s1, s9
	s_mul_i32 s9, s1, s9
	s_add_u32 s8, s8, s9
	s_mul_hi_u32 s16, s1, s2
	s_addc_u32 s3, s3, s17
	s_addc_u32 s8, s16, 0
	s_mul_i32 s2, s1, s2
	s_add_u32 s2, s3, s2
	s_addc_u32 s3, 0, s8
	s_add_u32 s8, s2, 1
	s_addc_u32 s9, s3, 0
	s_add_u32 s16, s2, 2
	s_mul_i32 s18, s3, 7
	s_mul_hi_u32 s19, s2, 7
	s_addc_u32 s17, s3, 0
	s_add_i32 s19, s19, s18
	s_mul_i32 s18, s2, 7
	v_mov_b32_e32 v1, s18
	v_sub_co_u32_e32 v1, vcc, s0, v1
	s_cmp_lg_u64 vcc, 0
	s_subb_u32 s0, s1, s19
	v_subrev_co_u32_e32 v2, vcc, 7, v1
	s_cmp_lg_u64 vcc, 0
	s_subb_u32 s1, s0, 0
	v_readfirstlane_b32 s18, v2
	s_cmp_gt_u32 s18, 6
	s_cselect_b32 s18, -1, 0
	s_cmp_eq_u32 s1, 0
	s_cselect_b32 s1, s18, -1
	s_cmp_lg_u32 s1, 0
	s_cselect_b32 s1, s16, s8
	s_cselect_b32 s8, s17, s9
	v_readfirstlane_b32 s9, v1
	s_cmp_gt_u32 s9, 6
	s_cselect_b32 s9, -1, 0
	s_cmp_eq_u32 s0, 0
	s_cselect_b32 s0, s9, -1
	s_cmp_lg_u32 s0, 0
	s_cselect_b32 s1, s1, s2
	s_cselect_b32 s0, s8, s3
	s_add_u32 s2, s1, 1
	s_addc_u32 s3, s0, 0
	v_mov_b32_e32 v1, s2
	v_mov_b32_e32 v2, s3
	v_cmp_lt_u64_e32 vcc, s[6:7], v[1:2]
	s_cbranch_vccnz .LBB0_4
; %bb.3:
	v_cvt_f32_u32_e32 v1, s2
	s_sub_i32 s0, 0, s2
	s_mov_b32 s25, s7
	v_rcp_iflag_f32_e32 v1, v1
	v_mul_f32_e32 v1, 0x4f7ffffe, v1
	v_cvt_u32_f32_e32 v1, v1
	v_readfirstlane_b32 s1, v1
	s_mul_i32 s0, s0, s1
	s_mul_hi_u32 s0, s1, s0
	s_add_i32 s1, s1, s0
	s_mul_hi_u32 s0, s6, s1
	s_mul_i32 s8, s0, s2
	s_sub_i32 s8, s6, s8
	s_add_i32 s1, s0, 1
	s_sub_i32 s9, s8, s2
	s_cmp_ge_u32 s8, s2
	s_cselect_b32 s0, s1, s0
	s_cselect_b32 s8, s9, s8
	s_add_i32 s1, s0, 1
	s_cmp_ge_u32 s8, s2
	s_cselect_b32 s24, s1, s0
.LBB0_4:
	s_mul_i32 s0, s24, s3
	s_mul_hi_u32 s1, s24, s2
	s_load_dwordx2 s[8:9], s[4:5], 0x58
	s_load_dwordx2 s[20:21], s[4:5], 0x0
	s_load_dwordx4 s[16:19], s[14:15], 0x0
	s_add_i32 s1, s1, s0
	s_mul_i32 s0, s24, s2
	s_sub_u32 s36, s6, s0
	s_subb_u32 s0, 0, s1
	s_mul_i32 s0, s0, 7
	s_mul_hi_u32 s33, s36, 7
	s_add_i32 s33, s33, s0
	s_mul_i32 s36, s36, 7
	s_waitcnt lgkmcnt(0)
	s_mul_i32 s0, s18, s33
	s_mul_hi_u32 s1, s18, s36
	s_add_i32 s0, s1, s0
	s_mul_i32 s1, s19, s36
	s_add_i32 s37, s0, s1
	v_cmp_lt_u64_e64 s[0:1], s[10:11], 3
	s_mul_i32 s38, s18, s36
	s_and_b64 vcc, exec, s[0:1]
	s_cbranch_vccnz .LBB0_14
; %bb.5:
	s_add_u32 s4, s14, 16
	s_addc_u32 s5, s15, 0
	s_add_u32 s12, s12, 16
	v_mov_b32_e32 v1, s10
	s_addc_u32 s13, s13, 0
	s_mov_b64 s[26:27], 2
	s_mov_b32 s28, 0
	v_mov_b32_e32 v2, s11
.LBB0_6:                                ; =>This Inner Loop Header: Depth=1
	s_load_dwordx2 s[30:31], s[12:13], 0x0
	s_waitcnt lgkmcnt(0)
	s_or_b64 s[0:1], s[24:25], s[30:31]
	s_mov_b32 s29, s1
	s_cmp_lg_u64 s[28:29], 0
	s_cbranch_scc0 .LBB0_11
; %bb.7:                                ;   in Loop: Header=BB0_6 Depth=1
	v_cvt_f32_u32_e32 v3, s30
	v_cvt_f32_u32_e32 v4, s31
	s_sub_u32 s0, 0, s30
	s_subb_u32 s1, 0, s31
	v_mac_f32_e32 v3, 0x4f800000, v4
	v_rcp_f32_e32 v3, v3
	v_mul_f32_e32 v3, 0x5f7ffffc, v3
	v_mul_f32_e32 v4, 0x2f800000, v3
	v_trunc_f32_e32 v4, v4
	v_mac_f32_e32 v3, 0xcf800000, v4
	v_cvt_u32_f32_e32 v4, v4
	v_cvt_u32_f32_e32 v3, v3
	v_readfirstlane_b32 s29, v4
	v_readfirstlane_b32 s34, v3
	s_mul_i32 s35, s0, s29
	s_mul_hi_u32 s40, s0, s34
	s_mul_i32 s39, s1, s34
	s_add_i32 s35, s40, s35
	s_mul_i32 s41, s0, s34
	s_add_i32 s35, s35, s39
	s_mul_hi_u32 s39, s34, s35
	s_mul_i32 s40, s34, s35
	s_mul_hi_u32 s34, s34, s41
	s_add_u32 s34, s34, s40
	s_addc_u32 s39, 0, s39
	s_mul_hi_u32 s42, s29, s41
	s_mul_i32 s41, s29, s41
	s_add_u32 s34, s34, s41
	s_mul_hi_u32 s40, s29, s35
	s_addc_u32 s34, s39, s42
	s_addc_u32 s39, s40, 0
	s_mul_i32 s35, s29, s35
	s_add_u32 s34, s34, s35
	s_addc_u32 s35, 0, s39
	v_add_co_u32_e32 v3, vcc, s34, v3
	s_cmp_lg_u64 vcc, 0
	s_addc_u32 s29, s29, s35
	v_readfirstlane_b32 s35, v3
	s_mul_i32 s34, s0, s29
	s_mul_hi_u32 s39, s0, s35
	s_add_i32 s34, s39, s34
	s_mul_i32 s1, s1, s35
	s_add_i32 s34, s34, s1
	s_mul_i32 s0, s0, s35
	s_mul_hi_u32 s39, s29, s0
	s_mul_i32 s40, s29, s0
	s_mul_i32 s42, s35, s34
	s_mul_hi_u32 s0, s35, s0
	s_mul_hi_u32 s41, s35, s34
	s_add_u32 s0, s0, s42
	s_addc_u32 s35, 0, s41
	s_add_u32 s0, s0, s40
	s_mul_hi_u32 s1, s29, s34
	s_addc_u32 s0, s35, s39
	s_addc_u32 s1, s1, 0
	s_mul_i32 s34, s29, s34
	s_add_u32 s0, s0, s34
	s_addc_u32 s1, 0, s1
	v_add_co_u32_e32 v3, vcc, s0, v3
	s_cmp_lg_u64 vcc, 0
	s_addc_u32 s0, s29, s1
	v_readfirstlane_b32 s34, v3
	s_mul_i32 s29, s24, s0
	s_mul_hi_u32 s35, s24, s34
	s_mul_hi_u32 s1, s24, s0
	s_add_u32 s29, s35, s29
	s_addc_u32 s1, 0, s1
	s_mul_hi_u32 s39, s25, s34
	s_mul_i32 s34, s25, s34
	s_add_u32 s29, s29, s34
	s_mul_hi_u32 s35, s25, s0
	s_addc_u32 s1, s1, s39
	s_addc_u32 s29, s35, 0
	s_mul_i32 s0, s25, s0
	s_add_u32 s34, s1, s0
	s_addc_u32 s29, 0, s29
	s_mul_i32 s0, s30, s29
	s_mul_hi_u32 s1, s30, s34
	s_add_i32 s0, s1, s0
	s_mul_i32 s1, s31, s34
	s_add_i32 s35, s0, s1
	s_mul_i32 s1, s30, s34
	v_mov_b32_e32 v3, s1
	s_sub_i32 s0, s25, s35
	v_sub_co_u32_e32 v3, vcc, s24, v3
	s_cmp_lg_u64 vcc, 0
	s_subb_u32 s39, s0, s31
	v_subrev_co_u32_e64 v4, s[0:1], s30, v3
	s_cmp_lg_u64 s[0:1], 0
	s_subb_u32 s0, s39, 0
	s_cmp_ge_u32 s0, s31
	v_readfirstlane_b32 s39, v4
	s_cselect_b32 s1, -1, 0
	s_cmp_ge_u32 s39, s30
	s_cselect_b32 s39, -1, 0
	s_cmp_eq_u32 s0, s31
	s_cselect_b32 s0, s39, s1
	s_add_u32 s1, s34, 1
	s_addc_u32 s39, s29, 0
	s_add_u32 s40, s34, 2
	s_addc_u32 s41, s29, 0
	s_cmp_lg_u32 s0, 0
	s_cselect_b32 s0, s40, s1
	s_cselect_b32 s1, s41, s39
	s_cmp_lg_u64 vcc, 0
	s_subb_u32 s35, s25, s35
	s_cmp_ge_u32 s35, s31
	v_readfirstlane_b32 s40, v3
	s_cselect_b32 s39, -1, 0
	s_cmp_ge_u32 s40, s30
	s_cselect_b32 s40, -1, 0
	s_cmp_eq_u32 s35, s31
	s_cselect_b32 s35, s40, s39
	s_cmp_lg_u32 s35, 0
	s_cselect_b32 s1, s1, s29
	s_cselect_b32 s0, s0, s34
	s_cbranch_execnz .LBB0_9
.LBB0_8:                                ;   in Loop: Header=BB0_6 Depth=1
	v_cvt_f32_u32_e32 v3, s30
	s_sub_i32 s0, 0, s30
	v_rcp_iflag_f32_e32 v3, v3
	v_mul_f32_e32 v3, 0x4f7ffffe, v3
	v_cvt_u32_f32_e32 v3, v3
	v_readfirstlane_b32 s1, v3
	s_mul_i32 s0, s0, s1
	s_mul_hi_u32 s0, s1, s0
	s_add_i32 s1, s1, s0
	s_mul_hi_u32 s0, s24, s1
	s_mul_i32 s29, s0, s30
	s_sub_i32 s29, s24, s29
	s_add_i32 s1, s0, 1
	s_sub_i32 s34, s29, s30
	s_cmp_ge_u32 s29, s30
	s_cselect_b32 s0, s1, s0
	s_cselect_b32 s29, s34, s29
	s_add_i32 s1, s0, 1
	s_cmp_ge_u32 s29, s30
	s_cselect_b32 s0, s1, s0
	s_mov_b32 s1, s28
.LBB0_9:                                ;   in Loop: Header=BB0_6 Depth=1
	s_mul_i32 s3, s30, s3
	s_mul_hi_u32 s29, s30, s2
	s_add_i32 s3, s29, s3
	s_mul_i32 s29, s31, s2
	s_add_i32 s3, s3, s29
	s_mul_i32 s29, s0, s31
	s_mul_hi_u32 s31, s0, s30
	s_load_dwordx2 s[34:35], s[4:5], 0x0
	s_add_i32 s29, s31, s29
	s_mul_i32 s31, s1, s30
	s_mul_i32 s2, s30, s2
	s_add_i32 s29, s29, s31
	s_mul_i32 s30, s0, s30
	s_sub_u32 s24, s24, s30
	s_subb_u32 s25, s25, s29
	s_waitcnt lgkmcnt(0)
	s_mul_i32 s25, s34, s25
	s_mul_hi_u32 s29, s34, s24
	s_add_i32 s25, s29, s25
	s_mul_i32 s29, s35, s24
	s_add_i32 s25, s25, s29
	s_mul_i32 s24, s34, s24
	s_add_u32 s38, s24, s38
	s_addc_u32 s37, s25, s37
	s_add_u32 s26, s26, 1
	s_addc_u32 s27, s27, 0
	;; [unrolled: 2-line block ×3, first 2 shown]
	v_cmp_ge_u64_e32 vcc, s[26:27], v[1:2]
	s_add_u32 s12, s12, 8
	s_addc_u32 s13, s13, 0
	s_cbranch_vccnz .LBB0_12
; %bb.10:                               ;   in Loop: Header=BB0_6 Depth=1
	s_mov_b64 s[24:25], s[0:1]
	s_branch .LBB0_6
.LBB0_11:                               ;   in Loop: Header=BB0_6 Depth=1
                                        ; implicit-def: $sgpr0_sgpr1
	s_branch .LBB0_8
.LBB0_12:
	v_mov_b32_e32 v1, s2
	v_mov_b32_e32 v2, s3
	v_cmp_lt_u64_e32 vcc, s[6:7], v[1:2]
	s_mov_b64 s[24:25], 0
	s_cbranch_vccnz .LBB0_14
; %bb.13:
	v_cvt_f32_u32_e32 v1, s2
	s_sub_i32 s0, 0, s2
	v_rcp_iflag_f32_e32 v1, v1
	v_mul_f32_e32 v1, 0x4f7ffffe, v1
	v_cvt_u32_f32_e32 v1, v1
	v_readfirstlane_b32 s1, v1
	s_mul_i32 s0, s0, s1
	s_mul_hi_u32 s0, s1, s0
	s_add_i32 s1, s1, s0
	s_mul_hi_u32 s0, s6, s1
	s_mul_i32 s3, s0, s2
	s_sub_i32 s3, s6, s3
	s_add_i32 s1, s0, 1
	s_sub_i32 s4, s3, s2
	s_cmp_ge_u32 s3, s2
	s_cselect_b32 s0, s1, s0
	s_cselect_b32 s3, s4, s3
	s_add_i32 s1, s0, 1
	s_cmp_ge_u32 s3, s2
	s_cselect_b32 s24, s1, s0
.LBB0_14:
	s_lshl_b64 s[0:1], s[10:11], 3
	s_add_u32 s0, s14, s0
	s_addc_u32 s1, s15, s1
	s_load_dwordx2 s[0:1], s[0:1], 0x0
	s_mov_b32 s2, 0x24924925
	v_mul_hi_u32 v53, v0, s2
	s_mov_b32 s11, 0x20000
	s_mov_b32 s10, -2
	s_waitcnt lgkmcnt(0)
	s_mul_i32 s1, s1, s24
	s_mul_hi_u32 s2, s0, s24
	s_mul_i32 s0, s0, s24
	s_add_i32 s2, s2, s1
	v_mul_u32_u24_e32 v1, 7, v53
	s_add_u32 s6, s0, s38
	v_sub_u32_e32 v29, v0, v1
	s_addc_u32 s7, s2, s37
	v_mov_b32_e32 v1, s33
	v_add_co_u32_e32 v34, vcc, s36, v29
	v_addc_co_u32_e32 v35, vcc, 0, v1, vcc
	s_add_u32 s0, s36, 7
	v_mov_b32_e32 v1, s22
	s_addc_u32 s1, s33, 0
	v_mov_b32_e32 v2, s23
	v_cmp_le_u64_e32 vcc, s[0:1], v[1:2]
	v_mad_u64_u32 v[30:31], s[0:1], s18, v29, 0
	v_mad_u64_u32 v[32:33], s[0:1], s16, v53, 0
	s_movk_i32 s0, 0xf4
	v_cmp_lt_u32_e64 s[4:5], s0, v0
	s_movk_i32 s0, 0xf5
	v_cmp_gt_u32_e64 s[2:3], s0, v0
	v_cmp_gt_u64_e64 s[0:1], s[22:23], v[34:35]
	v_cndmask_b32_e64 v1, 0, 1, s[2:3]
	v_cndmask_b32_e64 v2, 0, 1, s[0:1]
	s_or_b64 s[4:5], s[4:5], vcc
	v_cndmask_b32_e64 v1, v2, v1, s[4:5]
	v_and_b32_e32 v1, 1, v1
	v_add_lshl_u32 v2, v30, v32, 4
	v_add_u32_e32 v3, 0x8c, v53
	v_cmp_eq_u32_e64 s[4:5], 1, v1
	v_add_u32_e32 v1, 35, v53
	v_mul_lo_u32 v3, s16, v3
	v_cndmask_b32_e64 v17, -1, v2, s[4:5]
	v_add_u32_e32 v2, 0xaf, v53
	v_mul_lo_u32 v1, s16, v1
	v_mul_lo_u32 v2, s16, v2
	v_add_lshl_u32 v3, v30, v3, 4
	s_lshl_b32 s12, s6, 4
	v_add_lshl_u32 v1, v30, v1, 4
	v_cndmask_b32_e64 v18, -1, v3, s[4:5]
	v_add_lshl_u32 v2, v30, v2, 4
	v_cndmask_b32_e64 v19, -1, v1, s[4:5]
	v_cndmask_b32_e64 v20, -1, v2, s[4:5]
	buffer_load_dwordx4 v[1:4], v17, s[8:11], s12 offen
	buffer_load_dwordx4 v[5:8], v19, s[8:11], s12 offen
	;; [unrolled: 1-line block ×4, first 2 shown]
	v_add_u32_e32 v17, 0x46, v53
	v_add_u32_e32 v18, 0x69, v53
	;; [unrolled: 1-line block ×3, first 2 shown]
	v_mul_lo_u32 v17, s16, v17
	v_mul_lo_u32 v18, s16, v18
	;; [unrolled: 1-line block ×3, first 2 shown]
	v_add_u32_e32 v20, 0xf5, v53
	v_mul_lo_u32 v20, s16, v20
	v_add_lshl_u32 v17, v30, v17, 4
	v_add_lshl_u32 v25, v30, v18, 4
	;; [unrolled: 1-line block ×4, first 2 shown]
	v_cndmask_b32_e64 v27, -1, v17, s[4:5]
	v_cndmask_b32_e64 v28, -1, v18, s[4:5]
	;; [unrolled: 1-line block ×3, first 2 shown]
	buffer_load_dwordx4 v[17:20], v28, s[8:11], s12 offen
	buffer_load_dwordx4 v[21:24], v27, s[8:11], s12 offen
	v_cndmask_b32_e64 v40, -1, v26, s[4:5]
	buffer_load_dwordx4 v[35:38], v39, s[8:11], s12 offen
	buffer_load_dwordx4 v[25:28], v40, s[8:11], s12 offen
	s_mov_b32 s10, 0x667f3bcd
	s_mov_b32 s11, 0xbfe6a09e
	;; [unrolled: 1-line block ×4, first 2 shown]
	s_waitcnt vmcnt(5)
	v_add_f64 v[39:40], v[1:2], -v[9:10]
	v_add_f64 v[41:42], v[3:4], -v[11:12]
	s_waitcnt vmcnt(4)
	v_add_f64 v[43:44], v[5:6], -v[13:14]
	v_add_f64 v[45:46], v[7:8], -v[15:16]
	v_fma_f64 v[11:12], v[1:2], 2.0, -v[39:40]
	v_fma_f64 v[15:16], v[3:4], 2.0, -v[41:42]
	s_waitcnt vmcnt(2)
	v_add_f64 v[17:18], v[21:22], -v[17:18]
	v_add_f64 v[9:10], v[23:24], -v[19:20]
	s_waitcnt vmcnt(0)
	v_add_f64 v[19:20], v[37:38], -v[27:28]
	v_add_f64 v[47:48], v[35:36], -v[25:26]
	v_fma_f64 v[25:26], v[5:6], 2.0, -v[43:44]
	v_fma_f64 v[27:28], v[7:8], 2.0, -v[45:46]
	;; [unrolled: 1-line block ×4, first 2 shown]
	v_add_f64 v[9:10], v[39:40], v[9:10]
	v_add_f64 v[13:14], v[41:42], -v[17:18]
	v_add_f64 v[21:22], v[43:44], v[19:20]
	v_add_f64 v[17:18], v[45:46], -v[47:48]
	v_fma_f64 v[5:6], v[35:36], 2.0, -v[47:48]
	v_fma_f64 v[7:8], v[37:38], 2.0, -v[19:20]
	;; [unrolled: 1-line block ×6, first 2 shown]
	v_add_f64 v[38:39], v[11:12], -v[1:2]
	v_add_f64 v[40:41], v[15:16], -v[3:4]
	;; [unrolled: 1-line block ×4, first 2 shown]
	v_fma_f64 v[1:2], v[35:36], s[10:11], v[19:20]
	v_fma_f64 v[3:4], v[46:47], s[10:11], v[23:24]
	v_add_f64 v[5:6], v[38:39], v[44:45]
	v_add_f64 v[7:8], v[40:41], -v[42:43]
	v_fma_f64 v[1:2], v[46:47], s[12:13], v[1:2]
	v_fma_f64 v[3:4], v[35:36], s[10:11], v[3:4]
	v_mad_u64_u32 v[35:36], s[4:5], s19, v29, v[31:32]
	v_mov_b32_e32 v31, v33
	v_mad_u64_u32 v[36:37], s[4:5], s17, v53, v[31:32]
	v_lshlrev_b32_e32 v29, 4, v29
	s_and_saveexec_b64 s[4:5], s[2:3]
	s_cbranch_execz .LBB0_16
; %bb.15:
	v_fma_f64 v[48:49], v[15:16], 2.0, -v[40:41]
	v_fma_f64 v[15:16], v[27:28], 2.0, -v[44:45]
	;; [unrolled: 1-line block ×4, first 2 shown]
	v_fma_f64 v[46:47], v[17:18], s[12:13], v[13:14]
	v_fma_f64 v[25:26], v[21:22], s[12:13], v[9:10]
	v_fma_f64 v[19:20], v[19:20], 2.0, -v[1:2]
	v_add_f64 v[44:45], v[48:49], -v[15:16]
	v_fma_f64 v[15:16], v[38:39], 2.0, -v[5:6]
	v_add_f64 v[42:43], v[50:51], -v[11:12]
	v_fma_f64 v[27:28], v[21:22], s[10:11], v[46:47]
	v_fma_f64 v[25:26], v[17:18], s[12:13], v[25:26]
	v_fma_f64 v[21:22], v[23:24], 2.0, -v[3:4]
	v_fma_f64 v[17:18], v[40:41], 2.0, -v[7:8]
	;; [unrolled: 1-line block ×6, first 2 shown]
	v_mul_u32_u24_e32 v13, 56, v53
	v_lshlrev_b32_e32 v13, 4, v13
	v_add3_u32 v13, 0, v13, v29
	ds_write_b128 v13, v[19:22] offset:112
	ds_write_b128 v13, v[15:18] offset:224
	ds_write_b128 v13, v[37:40]
	ds_write_b128 v13, v[9:12] offset:336
	ds_write_b128 v13, v[42:45] offset:448
	;; [unrolled: 1-line block ×5, first 2 shown]
.LBB0_16:
	s_or_b64 exec, exec, s[4:5]
	v_and_b32_e32 v33, 7, v53
	v_lshlrev_b32_e32 v25, 6, v33
	s_waitcnt lgkmcnt(0)
	s_barrier
	global_load_dwordx4 v[9:12], v25, s[20:21]
	global_load_dwordx4 v[13:16], v25, s[20:21] offset:16
	global_load_dwordx4 v[17:20], v25, s[20:21] offset:32
	global_load_dwordx4 v[21:24], v25, s[20:21] offset:48
	v_mul_u32_u24_e32 v25, 0x70, v53
	v_add3_u32 v31, 0, v25, v29
	ds_read_b128 v[25:28], v31 offset:6272
	ds_read_b128 v[37:40], v31 offset:12544
	s_mov_b32 s10, 0x134454ff
	s_mov_b32 s11, 0xbfee6f0e
	;; [unrolled: 1-line block ×8, first 2 shown]
	s_waitcnt vmcnt(3) lgkmcnt(1)
	v_mul_f64 v[41:42], v[27:28], v[11:12]
	v_mul_f64 v[11:12], v[25:26], v[11:12]
	s_waitcnt vmcnt(2) lgkmcnt(0)
	v_mul_f64 v[43:44], v[39:40], v[15:16]
	v_mul_f64 v[15:16], v[37:38], v[15:16]
	v_fma_f64 v[49:50], v[25:26], v[9:10], v[41:42]
	v_fma_f64 v[51:52], v[27:28], v[9:10], -v[11:12]
	ds_read_b128 v[9:12], v31 offset:18816
	ds_read_b128 v[25:28], v31 offset:25088
	v_fma_f64 v[54:55], v[37:38], v[13:14], v[43:44]
	v_fma_f64 v[13:14], v[39:40], v[13:14], -v[15:16]
	s_waitcnt vmcnt(1) lgkmcnt(1)
	v_mul_f64 v[15:16], v[11:12], v[19:20]
	v_mul_f64 v[19:20], v[9:10], v[19:20]
	s_waitcnt vmcnt(0) lgkmcnt(0)
	v_mul_f64 v[37:38], v[27:28], v[23:24]
	v_mul_f64 v[23:24], v[25:26], v[23:24]
	v_fma_f64 v[15:16], v[9:10], v[17:18], v[15:16]
	v_fma_f64 v[19:20], v[11:12], v[17:18], -v[19:20]
	ds_read_b128 v[9:12], v31
	v_fma_f64 v[56:57], v[25:26], v[21:22], v[37:38]
	v_fma_f64 v[21:22], v[27:28], v[21:22], -v[23:24]
	s_waitcnt lgkmcnt(0)
	s_barrier
	v_add_f64 v[17:18], v[11:12], v[51:52]
	v_add_f64 v[23:24], v[9:10], v[49:50]
	;; [unrolled: 1-line block ×8, first 2 shown]
	v_fma_f64 v[39:40], v[25:26], -0.5, v[9:10]
	v_fma_f64 v[17:18], v[41:42], -0.5, v[11:12]
	;; [unrolled: 1-line block ×4, first 2 shown]
	v_add_f64 v[41:42], v[13:14], -v[51:52]
	v_add_f64 v[27:28], v[13:14], -v[19:20]
	v_add_f64 v[9:10], v[45:46], v[19:20]
	v_add_f64 v[58:59], v[47:48], v[15:16]
	v_add_f64 v[45:46], v[51:52], -v[13:14]
	v_add_f64 v[47:48], v[21:22], -v[19:20]
	;; [unrolled: 1-line block ×6, first 2 shown]
	v_add_f64 v[11:12], v[9:10], v[21:22]
	v_add_f64 v[21:22], v[49:50], -v[56:57]
	v_add_f64 v[51:52], v[54:55], -v[49:50]
	v_add_f64 v[45:46], v[45:46], v[47:48]
	v_add_f64 v[41:42], v[41:42], v[43:44]
	v_fma_f64 v[47:48], v[25:26], s[10:11], v[39:40]
	v_fma_f64 v[39:40], v[25:26], s[4:5], v[39:40]
	;; [unrolled: 1-line block ×4, first 2 shown]
	v_add_f64 v[49:50], v[56:57], -v[15:16]
	v_add_f64 v[9:10], v[58:59], v[56:57]
	v_add_f64 v[56:57], v[15:16], -v[56:57]
	v_fma_f64 v[47:48], v[27:28], s[2:3], v[47:48]
	v_fma_f64 v[27:28], v[27:28], s[12:13], v[39:40]
	;; [unrolled: 1-line block ×8, first 2 shown]
	v_add_f64 v[15:16], v[19:20], v[49:50]
	v_lshrrev_b32_e32 v49, 3, v53
	v_add_f64 v[19:20], v[51:52], v[56:57]
	v_fma_f64 v[39:40], v[21:22], s[12:13], v[39:40]
	v_fma_f64 v[23:24], v[21:22], s[2:3], v[23:24]
	v_mul_u32_u24_e32 v51, 40, v49
	v_fma_f64 v[21:22], v[13:14], s[12:13], v[25:26]
	v_fma_f64 v[49:50], v[13:14], s[2:3], v[17:18]
	s_mov_b32 s4, 0x372fe950
	s_mov_b32 s5, 0x3fd3c6ef
	v_fma_f64 v[13:14], v[15:16], s[4:5], v[47:48]
	v_fma_f64 v[25:26], v[15:16], s[4:5], v[27:28]
	;; [unrolled: 1-line block ×8, first 2 shown]
	v_or_b32_e32 v33, v51, v33
	s_movk_i32 s10, 0x118
	v_mul_u32_u24_e32 v33, 0x70, v33
	v_add3_u32 v29, 0, v33, v29
	v_cmp_gt_u32_e64 s[2:3], s10, v0
	ds_write_b128 v29, v[9:12]
	ds_write_b128 v29, v[13:16] offset:896
	ds_write_b128 v29, v[17:20] offset:1792
	;; [unrolled: 1-line block ×4, first 2 shown]
	s_waitcnt lgkmcnt(0)
	s_barrier
	s_and_saveexec_b64 s[4:5], s[2:3]
	s_cbranch_execz .LBB0_18
; %bb.17:
	ds_read_b128 v[9:12], v31
	ds_read_b128 v[13:16], v31 offset:4480
	ds_read_b128 v[17:20], v31 offset:8960
	;; [unrolled: 1-line block ×6, first 2 shown]
.LBB0_18:
	s_or_b64 exec, exec, s[4:5]
	s_mov_b32 s4, 0x6666667
	v_mul_hi_u32 v0, v53, s4
	v_mov_b32_e32 v31, v35
	v_mov_b32_e32 v33, v36
	s_mov_b32 s4, 0x37e14327
	v_mul_u32_u24_e32 v0, 40, v0
	v_sub_u32_e32 v56, v53, v0
	v_mul_u32_u24_e32 v0, 6, v56
	v_lshlrev_b32_e32 v0, 4, v0
	global_load_dwordx4 v[35:38], v0, s[20:21] offset:560
	global_load_dwordx4 v[39:42], v0, s[20:21] offset:544
	;; [unrolled: 1-line block ×4, first 2 shown]
	s_mov_b32 s5, 0x3fe948f6
	s_mov_b32 s10, 0xe976ee23
	;; [unrolled: 1-line block ×5, first 2 shown]
	v_lshlrev_b64 v[30:31], 4, v[30:31]
	s_waitcnt vmcnt(0) lgkmcnt(5)
	v_mul_f64 v[51:52], v[15:16], v[49:50]
	v_fma_f64 v[51:52], v[13:14], v[47:48], v[51:52]
	v_mul_f64 v[13:14], v[13:14], v[49:50]
	v_fma_f64 v[47:48], v[15:16], v[47:48], -v[13:14]
	s_waitcnt lgkmcnt(4)
	v_mul_f64 v[13:14], v[19:20], v[45:46]
	v_fma_f64 v[49:50], v[17:18], v[43:44], v[13:14]
	v_mul_f64 v[13:14], v[17:18], v[45:46]
	v_fma_f64 v[43:44], v[19:20], v[43:44], -v[13:14]
	s_waitcnt lgkmcnt(3)
	v_mul_f64 v[13:14], v[23:24], v[41:42]
	v_fma_f64 v[45:46], v[21:22], v[39:40], v[13:14]
	v_mul_f64 v[13:14], v[21:22], v[41:42]
	v_fma_f64 v[21:22], v[23:24], v[39:40], -v[13:14]
	s_waitcnt lgkmcnt(2)
	v_mul_f64 v[13:14], v[27:28], v[37:38]
	v_fma_f64 v[23:24], v[25:26], v[35:36], v[13:14]
	v_mul_f64 v[13:14], v[25:26], v[37:38]
	v_fma_f64 v[25:26], v[27:28], v[35:36], -v[13:14]
	global_load_dwordx4 v[13:16], v0, s[20:21] offset:592
	global_load_dwordx4 v[17:20], v0, s[20:21] offset:576
	v_add_f64 v[35:36], v[21:22], v[25:26]
	v_add_f64 v[21:22], v[25:26], -v[21:22]
	s_waitcnt vmcnt(0) lgkmcnt(1)
	v_mul_f64 v[27:28], v[3:4], v[19:20]
	v_fma_f64 v[27:28], v[1:2], v[17:18], v[27:28]
	v_mul_f64 v[0:1], v[1:2], v[19:20]
	v_add_f64 v[19:20], v[49:50], -v[27:28]
	v_fma_f64 v[0:1], v[3:4], v[17:18], -v[0:1]
	s_waitcnt lgkmcnt(0)
	v_mul_f64 v[2:3], v[7:8], v[15:16]
	v_add_f64 v[17:18], v[43:44], v[0:1]
	v_fma_f64 v[2:3], v[5:6], v[13:14], v[2:3]
	v_mul_f64 v[4:5], v[5:6], v[15:16]
	v_add_f64 v[15:16], v[49:50], v[27:28]
	v_add_f64 v[27:28], v[45:46], v[23:24]
	v_add_f64 v[23:24], v[23:24], -v[45:46]
	v_add_f64 v[0:1], v[43:44], -v[0:1]
	v_fma_f64 v[4:5], v[7:8], v[13:14], -v[4:5]
	v_add_f64 v[6:7], v[51:52], v[2:3]
	v_add_f64 v[2:3], v[51:52], -v[2:3]
	v_add_f64 v[43:44], v[23:24], v[19:20]
	v_add_f64 v[45:46], v[21:22], v[0:1]
	v_add_f64 v[49:50], v[21:22], -v[0:1]
	v_add_f64 v[13:14], v[47:48], v[4:5]
	v_add_f64 v[25:26], v[15:16], v[6:7]
	v_add_f64 v[39:40], v[15:16], -v[6:7]
	v_add_f64 v[6:7], v[6:7], -v[27:28]
	;; [unrolled: 1-line block ×6, first 2 shown]
	v_add_f64 v[37:38], v[17:18], v[13:14]
	v_add_f64 v[41:42], v[17:18], -v[13:14]
	v_add_f64 v[13:14], v[13:14], -v[35:36]
	v_add_f64 v[25:26], v[27:28], v[25:26]
	v_add_f64 v[17:18], v[35:36], -v[17:18]
	v_add_f64 v[23:24], v[2:3], -v[23:24]
	v_mul_f64 v[6:7], v[6:7], s[4:5]
	v_add_f64 v[21:22], v[4:5], -v[21:22]
	v_add_f64 v[27:28], v[35:36], v[37:38]
	v_add_f64 v[35:36], v[43:44], v[2:3]
	v_add_f64 v[0:1], v[0:1], -v[4:5]
	v_add_f64 v[2:3], v[9:10], v[25:26]
	v_mul_f64 v[8:9], v[13:14], s[4:5]
	s_mov_b32 s4, 0x36b3c0b5
	s_mov_b32 s5, 0x3fac98ee
	v_add_f64 v[37:38], v[45:46], v[4:5]
	v_add_f64 v[4:5], v[11:12], v[27:28]
	v_mul_f64 v[10:11], v[15:16], s[4:5]
	v_mul_f64 v[12:13], v[17:18], s[4:5]
	;; [unrolled: 1-line block ×4, first 2 shown]
	s_mov_b32 s10, 0x429ad128
	s_mov_b32 s11, 0xbfebfeb5
	v_mul_f64 v[47:48], v[19:20], s[10:11]
	v_fma_f64 v[14:15], v[15:16], s[4:5], v[6:7]
	v_fma_f64 v[16:17], v[17:18], s[4:5], v[8:9]
	s_mov_b32 s5, 0x3fe77f67
	s_mov_b32 s4, 0x5476071b
	v_fma_f64 v[10:11], v[39:40], s[4:5], -v[10:11]
	v_fma_f64 v[12:13], v[41:42], s[4:5], -v[12:13]
	s_mov_b32 s5, 0xbfe77f67
	v_mul_f64 v[49:50], v[0:1], s[10:11]
	v_fma_f64 v[6:7], v[39:40], s[4:5], -v[6:7]
	v_fma_f64 v[8:9], v[41:42], s[4:5], -v[8:9]
	s_mov_b32 s5, 0xbfd5d0dc
	s_mov_b32 s4, 0xb247c609
	v_fma_f64 v[39:40], v[23:24], s[4:5], v[43:44]
	v_fma_f64 v[41:42], v[21:22], s[4:5], v[45:46]
	s_mov_b32 s5, 0x3fd5d0dc
	v_fma_f64 v[27:28], v[27:28], s[12:13], v[4:5]
	v_fma_f64 v[23:24], v[23:24], s[4:5], -v[47:48]
	v_fma_f64 v[25:26], v[25:26], s[12:13], v[2:3]
	v_fma_f64 v[0:1], v[0:1], s[10:11], -v[45:46]
	v_fma_f64 v[18:19], v[19:20], s[10:11], -v[43:44]
	;; [unrolled: 1-line block ×3, first 2 shown]
	s_mov_b32 s4, 0x37c3f68c
	s_mov_b32 s5, 0xbfdc38aa
	v_add_f64 v[8:9], v[8:9], v[27:28]
	v_fma_f64 v[22:23], v[35:36], s[4:5], v[23:24]
	v_add_f64 v[47:48], v[10:11], v[25:26]
	v_fma_f64 v[0:1], v[37:38], s[4:5], v[0:1]
	;; [unrolled: 2-line block ×4, first 2 shown]
	v_add_f64 v[16:17], v[16:17], v[27:28]
	v_add_f64 v[24:25], v[8:9], -v[22:23]
	v_add_f64 v[37:38], v[22:23], v[8:9]
	v_mul_lo_u32 v8, v56, v34
	v_mul_lo_u32 v34, v34, 40
	v_add_f64 v[49:50], v[12:13], v[27:28]
	v_fma_f64 v[28:29], v[35:36], s[4:5], v[39:40]
	v_add_f64 v[45:46], v[47:48], -v[0:1]
	v_add_f64 v[39:40], v[0:1], v[47:48]
	v_add_u32_e32 v47, v8, v34
	v_add_u32_e32 v61, v47, v34
	;; [unrolled: 1-line block ×3, first 2 shown]
	v_fma_f64 v[18:19], v[35:36], s[4:5], v[18:19]
	v_add_f64 v[10:11], v[54:55], v[14:15]
	v_add_f64 v[35:36], v[14:15], -v[54:55]
	v_add_u32_e32 v55, v56, v34
	v_and_b32_e32 v0, 31, v8
	v_and_b32_e32 v9, 31, v55
	v_lshl_add_u32 v0, v0, 4, 0
	v_lshl_add_u32 v9, v9, 4, 0
	v_add_f64 v[6:7], v[20:21], v[51:52]
	v_add_f64 v[26:27], v[51:52], -v[20:21]
	ds_read_b64 v[0:1], v0 offset:31360
	ds_read_b128 v[20:23], v9 offset:31360
	ds_read_b64 v[51:52], v9 offset:31368
	v_lshrrev_b32_e32 v9, 1, v8
	s_add_i32 s4, 0, 0x7a80
	v_and_b32_e32 v9, 0x1f0, v9
	v_add_u32_e32 v9, s4, v9
	v_add_f64 v[12:13], v[16:17], -v[28:29]
	v_add_f64 v[28:29], v[28:29], v[16:17]
	ds_read_b128 v[14:17], v9 offset:512
	v_add_f64 v[43:44], v[18:19], v[49:50]
	v_add_f64 v[41:42], v[49:50], -v[18:19]
	v_lshrrev_b32_e32 v8, 6, v8
	v_and_b32_e32 v8, 0x1f0, v8
	s_waitcnt lgkmcnt(0)
	v_mul_f64 v[18:19], v[22:23], v[16:17]
	v_add_u32_e32 v8, s4, v8
	v_add_u32_e32 v54, v55, v34
	;; [unrolled: 1-line block ×3, first 2 shown]
	v_fma_f64 v[18:19], v[0:1], v[14:15], -v[18:19]
	v_mul_f64 v[0:1], v[0:1], v[16:17]
	v_fma_f64 v[0:1], v[22:23], v[14:15], v[0:1]
	ds_read_b128 v[14:17], v8 offset:1024
	s_waitcnt lgkmcnt(0)
	v_mul_f64 v[8:9], v[0:1], v[16:17]
	v_mul_f64 v[16:17], v[18:19], v[16:17]
	v_fma_f64 v[8:9], v[14:15], v[18:19], -v[8:9]
	v_fma_f64 v[14:15], v[14:15], v[0:1], v[16:17]
	v_mul_f64 v[0:1], v[4:5], v[14:15]
	v_fma_f64 v[0:1], v[2:3], v[8:9], v[0:1]
	v_mul_f64 v[2:3], v[2:3], v[14:15]
	v_lshrrev_b32_e32 v14, 6, v47
	v_and_b32_e32 v14, 0x1f0, v14
	v_add_u32_e32 v14, s4, v14
	v_fma_f64 v[2:3], v[4:5], v[8:9], -v[2:3]
	v_and_b32_e32 v4, 31, v47
	v_and_b32_e32 v8, 31, v54
	v_lshl_add_u32 v4, v4, 4, 0
	v_lshl_add_u32 v8, v8, 4, 0
	ds_read_b64 v[4:5], v4 offset:31360
	ds_read_b128 v[16:19], v8 offset:31360
	ds_read_b64 v[49:50], v8 offset:31368
	v_lshrrev_b32_e32 v8, 1, v47
	v_and_b32_e32 v8, 0x1f0, v8
	v_add_u32_e32 v8, s4, v8
	ds_read_b128 v[57:60], v8 offset:512
	s_waitcnt lgkmcnt(0)
	v_mul_f64 v[8:9], v[18:19], v[59:60]
	v_fma_f64 v[8:9], v[4:5], v[57:58], -v[8:9]
	v_mul_f64 v[4:5], v[4:5], v[59:60]
	v_fma_f64 v[4:5], v[18:19], v[57:58], v[4:5]
	ds_read_b128 v[57:60], v14 offset:1024
	s_waitcnt lgkmcnt(0)
	v_mul_f64 v[14:15], v[4:5], v[59:60]
	v_fma_f64 v[14:15], v[57:58], v[8:9], -v[14:15]
	v_mul_f64 v[8:9], v[8:9], v[59:60]
	v_fma_f64 v[4:5], v[57:58], v[4:5], v[8:9]
	v_mul_f64 v[8:9], v[12:13], v[4:5]
	v_mul_f64 v[4:5], v[10:11], v[4:5]
	v_fma_f64 v[8:9], v[10:11], v[14:15], v[8:9]
	v_fma_f64 v[10:11], v[12:13], v[14:15], -v[4:5]
	v_and_b32_e32 v4, 31, v61
	v_and_b32_e32 v12, 31, v34
	v_lshl_add_u32 v4, v4, 4, 0
	v_lshl_add_u32 v18, v12, 4, 0
	ds_read_b64 v[4:5], v4 offset:31360
	ds_read_b128 v[12:15], v18 offset:31360
	ds_read_b64 v[47:48], v18 offset:31368
	v_lshrrev_b32_e32 v18, 1, v61
	v_and_b32_e32 v18, 0x1f0, v18
	v_add_u32_e32 v18, s4, v18
	ds_read_b128 v[57:60], v18 offset:512
	s_waitcnt lgkmcnt(0)
	v_mul_f64 v[18:19], v[14:15], v[59:60]
	v_fma_f64 v[18:19], v[4:5], v[57:58], -v[18:19]
	v_mul_f64 v[4:5], v[4:5], v[59:60]
	v_fma_f64 v[4:5], v[14:15], v[57:58], v[4:5]
	v_lshrrev_b32_e32 v14, 6, v61
	v_and_b32_e32 v14, 0x1f0, v14
	v_add_u32_e32 v14, s4, v14
	ds_read_b128 v[57:60], v14 offset:1024
	s_waitcnt lgkmcnt(0)
	v_mul_f64 v[14:15], v[4:5], v[59:60]
	v_fma_f64 v[14:15], v[57:58], v[18:19], -v[14:15]
	v_mul_f64 v[18:19], v[18:19], v[59:60]
	v_fma_f64 v[18:19], v[57:58], v[4:5], v[18:19]
	v_mul_f64 v[4:5], v[24:25], v[18:19]
	v_fma_f64 v[4:5], v[6:7], v[14:15], v[4:5]
	v_mul_f64 v[6:7], v[6:7], v[18:19]
	v_fma_f64 v[6:7], v[24:25], v[14:15], -v[6:7]
	v_and_b32_e32 v14, 31, v56
	v_lshl_add_u32 v14, v14, 4, 0
	ds_read_b128 v[22:25], v14 offset:31360
	v_lshrrev_b32_e32 v14, 1, v56
	v_and_b32_e32 v14, 0x1f0, v14
	v_add_u32_e32 v14, s4, v14
	ds_read_b128 v[57:60], v14 offset:512
	s_waitcnt lgkmcnt(0)
	v_mul_f64 v[14:15], v[24:25], v[59:60]
	v_mul_f64 v[18:19], v[22:23], v[59:60]
	v_fma_f64 v[14:15], v[22:23], v[57:58], -v[14:15]
	v_fma_f64 v[18:19], v[24:25], v[57:58], v[18:19]
	v_lshrrev_b32_e32 v22, 6, v56
	v_and_b32_e32 v22, 0x1f0, v22
	v_add_u32_e32 v22, s4, v22
	ds_read_b128 v[22:25], v22 offset:1024
	s_waitcnt lgkmcnt(0)
	v_mul_f64 v[56:57], v[18:19], v[24:25]
	v_fma_f64 v[56:57], v[22:23], v[14:15], -v[56:57]
	v_mul_f64 v[14:15], v[14:15], v[24:25]
	v_fma_f64 v[14:15], v[22:23], v[18:19], v[14:15]
	v_mul_f64 v[18:19], v[43:44], v[14:15]
	v_mul_f64 v[14:15], v[45:46], v[14:15]
	v_fma_f64 v[22:23], v[45:46], v[56:57], v[18:19]
	v_fma_f64 v[24:25], v[43:44], v[56:57], -v[14:15]
	v_lshrrev_b32_e32 v14, 1, v55
	v_and_b32_e32 v14, 0x1f0, v14
	v_add_u32_e32 v14, s4, v14
	ds_read_b128 v[43:46], v14 offset:512
	s_waitcnt lgkmcnt(0)
	v_mul_f64 v[14:15], v[51:52], v[45:46]
	v_mul_f64 v[18:19], v[20:21], v[45:46]
	v_fma_f64 v[14:15], v[20:21], v[43:44], -v[14:15]
	v_fma_f64 v[43:44], v[51:52], v[43:44], v[18:19]
	v_lshrrev_b32_e32 v18, 6, v55
	v_and_b32_e32 v18, 0x1f0, v18
	v_add_u32_e32 v18, s4, v18
	ds_read_b128 v[18:21], v18 offset:1024
	s_waitcnt lgkmcnt(0)
	v_mul_f64 v[45:46], v[43:44], v[20:21]
	v_fma_f64 v[45:46], v[18:19], v[14:15], -v[45:46]
	v_mul_f64 v[14:15], v[14:15], v[20:21]
	v_fma_f64 v[14:15], v[18:19], v[43:44], v[14:15]
	v_mul_f64 v[18:19], v[41:42], v[14:15]
	v_mul_f64 v[14:15], v[39:40], v[14:15]
	v_fma_f64 v[18:19], v[39:40], v[45:46], v[18:19]
	v_fma_f64 v[20:21], v[41:42], v[45:46], -v[14:15]
	v_lshrrev_b32_e32 v14, 1, v54
	v_and_b32_e32 v14, 0x1f0, v14
	v_add_u32_e32 v14, s4, v14
	ds_read_b128 v[39:42], v14 offset:512
	s_waitcnt lgkmcnt(0)
	v_mul_f64 v[14:15], v[49:50], v[41:42]
	v_fma_f64 v[43:44], v[16:17], v[39:40], -v[14:15]
	v_mul_f64 v[14:15], v[16:17], v[41:42]
	v_fma_f64 v[39:40], v[49:50], v[39:40], v[14:15]
	v_lshrrev_b32_e32 v14, 6, v54
	v_and_b32_e32 v14, 0x1f0, v14
	v_add_u32_e32 v14, s4, v14
	ds_read_b128 v[14:17], v14 offset:1024
	s_waitcnt lgkmcnt(0)
	v_mul_f64 v[41:42], v[39:40], v[16:17]
	v_mul_f64 v[16:17], v[43:44], v[16:17]
	v_fma_f64 v[41:42], v[14:15], v[43:44], -v[41:42]
	v_fma_f64 v[16:17], v[14:15], v[39:40], v[16:17]
	v_mul_f64 v[14:15], v[37:38], v[16:17]
	v_mul_f64 v[16:17], v[26:27], v[16:17]
	v_fma_f64 v[14:15], v[26:27], v[41:42], v[14:15]
	v_lshrrev_b32_e32 v26, 1, v34
	v_and_b32_e32 v26, 0x1f0, v26
	v_add_u32_e32 v26, s4, v26
	v_fma_f64 v[16:17], v[37:38], v[41:42], -v[16:17]
	ds_read_b128 v[37:40], v26 offset:512
	v_lshrrev_b32_e32 v34, 6, v34
	v_and_b32_e32 v34, 0x1f0, v34
	v_add_u32_e32 v34, s4, v34
	s_and_b64 s[4:5], s[2:3], vcc
	s_waitcnt lgkmcnt(0)
	v_mul_f64 v[26:27], v[47:48], v[39:40]
	v_fma_f64 v[26:27], v[12:13], v[37:38], -v[26:27]
	v_mul_f64 v[12:13], v[12:13], v[39:40]
	v_fma_f64 v[12:13], v[47:48], v[37:38], v[12:13]
	ds_read_b128 v[37:40], v34 offset:1024
	s_waitcnt lgkmcnt(0)
	v_mul_f64 v[41:42], v[12:13], v[39:40]
	v_fma_f64 v[41:42], v[37:38], v[26:27], -v[41:42]
	v_mul_f64 v[26:27], v[26:27], v[39:40]
	v_fma_f64 v[12:13], v[37:38], v[12:13], v[26:27]
	v_mul_f64 v[26:27], v[28:29], v[12:13]
	v_mul_f64 v[12:13], v[35:36], v[12:13]
	v_fma_f64 v[26:27], v[35:36], v[41:42], v[26:27]
	v_fma_f64 v[28:29], v[28:29], v[41:42], -v[12:13]
	v_lshlrev_b64 v[12:13], 4, v[32:33]
	v_add_u32_e32 v32, 40, v53
	s_and_saveexec_b64 s[10:11], s[4:5]
	s_cbranch_execz .LBB0_20
; %bb.19:
	s_lshl_b64 s[4:5], s[6:7], 4
	s_add_u32 s4, s8, s4
	s_addc_u32 s5, s9, s5
	v_mov_b32_e32 v33, s5
	v_add_co_u32_e64 v40, s[4:5], s4, v30
	v_addc_co_u32_e64 v41, s[4:5], v33, v31, s[4:5]
	v_mad_u64_u32 v[33:34], s[4:5], s16, v32, 0
	v_add_co_u32_e64 v35, s[4:5], v40, v12
	v_addc_co_u32_e64 v36, s[4:5], v41, v13, s[4:5]
	v_mad_u64_u32 v[37:38], s[4:5], s17, v32, v[34:35]
	v_add_u32_e32 v42, 0x50, v53
	v_mad_u64_u32 v[38:39], s[4:5], s16, v42, 0
	global_store_dwordx4 v[35:36], v[0:3], off
	v_mov_b32_e32 v34, v37
	v_mov_b32_e32 v35, v39
	v_mad_u64_u32 v[35:36], s[4:5], s17, v42, v[35:36]
	v_lshlrev_b64 v[33:34], 4, v[33:34]
	v_add_u32_e32 v37, 0x78, v53
	v_add_co_u32_e64 v33, s[4:5], v40, v33
	v_addc_co_u32_e64 v34, s[4:5], v41, v34, s[4:5]
	v_mov_b32_e32 v39, v35
	v_mad_u64_u32 v[35:36], s[4:5], s16, v37, 0
	global_store_dwordx4 v[33:34], v[8:11], off
	v_lshlrev_b64 v[33:34], 4, v[38:39]
	v_add_u32_e32 v39, 0xa0, v53
	v_add_co_u32_e64 v33, s[4:5], v40, v33
	v_addc_co_u32_e64 v34, s[4:5], v41, v34, s[4:5]
	v_mad_u64_u32 v[36:37], s[4:5], s17, v37, v[36:37]
	v_mad_u64_u32 v[37:38], s[4:5], s16, v39, 0
	global_store_dwordx4 v[33:34], v[4:7], off
	v_lshlrev_b64 v[33:34], 4, v[35:36]
	v_mov_b32_e32 v35, v38
	v_mad_u64_u32 v[35:36], s[4:5], s17, v39, v[35:36]
	v_add_co_u32_e64 v33, s[4:5], v40, v33
	v_addc_co_u32_e64 v34, s[4:5], v41, v34, s[4:5]
	v_mov_b32_e32 v38, v35
	global_store_dwordx4 v[33:34], v[22:25], off
	v_lshlrev_b64 v[33:34], 4, v[37:38]
	v_add_u32_e32 v37, 0xc8, v53
	v_mad_u64_u32 v[35:36], s[4:5], s16, v37, 0
	v_add_co_u32_e64 v33, s[4:5], v40, v33
	v_addc_co_u32_e64 v34, s[4:5], v41, v34, s[4:5]
	v_mad_u64_u32 v[36:37], s[4:5], s17, v37, v[36:37]
	v_add_u32_e32 v39, 0xf0, v53
	v_mad_u64_u32 v[37:38], s[4:5], s16, v39, 0
	global_store_dwordx4 v[33:34], v[18:21], off
	v_lshlrev_b64 v[33:34], 4, v[35:36]
	v_mov_b32_e32 v35, v38
	v_mad_u64_u32 v[35:36], s[4:5], s17, v39, v[35:36]
	v_add_co_u32_e64 v33, s[4:5], v40, v33
	v_addc_co_u32_e64 v34, s[4:5], v41, v34, s[4:5]
	v_mov_b32_e32 v38, v35
	global_store_dwordx4 v[33:34], v[14:17], off
	v_lshlrev_b64 v[33:34], 4, v[37:38]
	v_add_co_u32_e64 v33, s[4:5], v40, v33
	v_addc_co_u32_e64 v34, s[4:5], v41, v34, s[4:5]
	global_store_dwordx4 v[33:34], v[26:29], off
.LBB0_20:
	s_or_b64 exec, exec, s[10:11]
	s_xor_b64 s[4:5], vcc, -1
	s_and_b64 s[0:1], s[2:3], s[0:1]
	s_and_b64 s[0:1], s[4:5], s[0:1]
	s_and_saveexec_b64 s[2:3], s[0:1]
	s_cbranch_execz .LBB0_22
; %bb.21:
	s_lshl_b64 s[0:1], s[6:7], 4
	s_add_u32 s0, s8, s0
	s_addc_u32 s1, s9, s1
	v_mov_b32_e32 v33, s1
	v_add_co_u32_e32 v34, vcc, s0, v30
	v_addc_co_u32_e32 v35, vcc, v33, v31, vcc
	v_mad_u64_u32 v[30:31], s[0:1], s16, v32, 0
	v_add_u32_e32 v36, 0x50, v53
	v_add_co_u32_e32 v12, vcc, v34, v12
	v_mad_u64_u32 v[31:32], s[0:1], s17, v32, v[31:32]
	v_mad_u64_u32 v[32:33], s[0:1], s16, v36, 0
	v_addc_co_u32_e32 v13, vcc, v35, v13, vcc
	global_store_dwordx4 v[12:13], v[0:3], off
	s_nop 0
	v_lshlrev_b64 v[0:1], 4, v[30:31]
	v_mov_b32_e32 v2, v33
	v_mad_u64_u32 v[2:3], s[0:1], s17, v36, v[2:3]
	v_add_co_u32_e32 v0, vcc, v34, v0
	v_addc_co_u32_e32 v1, vcc, v35, v1, vcc
	global_store_dwordx4 v[0:1], v[8:11], off
	v_mov_b32_e32 v33, v2
	v_add_u32_e32 v8, 0x78, v53
	v_mad_u64_u32 v[2:3], s[0:1], s16, v8, 0
	v_add_u32_e32 v11, 0xa0, v53
	v_lshlrev_b64 v[0:1], 4, v[32:33]
	v_mad_u64_u32 v[8:9], s[0:1], s17, v8, v[3:4]
	v_mad_u64_u32 v[9:10], s[0:1], s16, v11, 0
	v_add_co_u32_e32 v0, vcc, v34, v0
	v_addc_co_u32_e32 v1, vcc, v35, v1, vcc
	v_mov_b32_e32 v3, v8
	global_store_dwordx4 v[0:1], v[4:7], off
	v_lshlrev_b64 v[0:1], 4, v[2:3]
	v_mov_b32_e32 v2, v10
	v_mad_u64_u32 v[2:3], s[0:1], s17, v11, v[2:3]
	v_add_u32_e32 v4, 0xc8, v53
	v_add_co_u32_e32 v0, vcc, v34, v0
	v_mov_b32_e32 v10, v2
	v_mad_u64_u32 v[2:3], s[0:1], s16, v4, 0
	v_addc_co_u32_e32 v1, vcc, v35, v1, vcc
	v_mad_u64_u32 v[3:4], s[0:1], s17, v4, v[3:4]
	v_add_u32_e32 v6, 0xf0, v53
	global_store_dwordx4 v[0:1], v[22:25], off
	v_lshlrev_b64 v[0:1], 4, v[9:10]
	v_mad_u64_u32 v[4:5], s[0:1], s16, v6, 0
	v_add_co_u32_e32 v0, vcc, v34, v0
	v_addc_co_u32_e32 v1, vcc, v35, v1, vcc
	global_store_dwordx4 v[0:1], v[18:21], off
	v_lshlrev_b64 v[0:1], 4, v[2:3]
	v_mov_b32_e32 v2, v5
	v_mad_u64_u32 v[2:3], s[0:1], s17, v6, v[2:3]
	v_add_co_u32_e32 v0, vcc, v34, v0
	v_addc_co_u32_e32 v1, vcc, v35, v1, vcc
	v_mov_b32_e32 v5, v2
	global_store_dwordx4 v[0:1], v[14:17], off
	v_lshlrev_b64 v[0:1], 4, v[4:5]
	v_add_co_u32_e32 v0, vcc, v34, v0
	v_addc_co_u32_e32 v1, vcc, v35, v1, vcc
	global_store_dwordx4 v[0:1], v[26:29], off
.LBB0_22:
	s_endpgm
	.section	.rodata,"a",@progbits
	.p2align	6, 0x0
	.amdhsa_kernel fft_rtc_back_len280_factors_8_5_7_wgs_392_tpt_56_dp_ip_CI_sbcc_twdbase5_3step_dirReg_intrinsicRead
		.amdhsa_group_segment_fixed_size 0
		.amdhsa_private_segment_fixed_size 0
		.amdhsa_kernarg_size 96
		.amdhsa_user_sgpr_count 6
		.amdhsa_user_sgpr_private_segment_buffer 1
		.amdhsa_user_sgpr_dispatch_ptr 0
		.amdhsa_user_sgpr_queue_ptr 0
		.amdhsa_user_sgpr_kernarg_segment_ptr 1
		.amdhsa_user_sgpr_dispatch_id 0
		.amdhsa_user_sgpr_flat_scratch_init 0
		.amdhsa_user_sgpr_private_segment_size 0
		.amdhsa_uses_dynamic_stack 0
		.amdhsa_system_sgpr_private_segment_wavefront_offset 0
		.amdhsa_system_sgpr_workgroup_id_x 1
		.amdhsa_system_sgpr_workgroup_id_y 0
		.amdhsa_system_sgpr_workgroup_id_z 0
		.amdhsa_system_sgpr_workgroup_info 0
		.amdhsa_system_vgpr_workitem_id 0
		.amdhsa_next_free_vgpr 62
		.amdhsa_next_free_sgpr 43
		.amdhsa_reserve_vcc 1
		.amdhsa_reserve_flat_scratch 0
		.amdhsa_float_round_mode_32 0
		.amdhsa_float_round_mode_16_64 0
		.amdhsa_float_denorm_mode_32 3
		.amdhsa_float_denorm_mode_16_64 3
		.amdhsa_dx10_clamp 1
		.amdhsa_ieee_mode 1
		.amdhsa_fp16_overflow 0
		.amdhsa_exception_fp_ieee_invalid_op 0
		.amdhsa_exception_fp_denorm_src 0
		.amdhsa_exception_fp_ieee_div_zero 0
		.amdhsa_exception_fp_ieee_overflow 0
		.amdhsa_exception_fp_ieee_underflow 0
		.amdhsa_exception_fp_ieee_inexact 0
		.amdhsa_exception_int_div_zero 0
	.end_amdhsa_kernel
	.text
.Lfunc_end0:
	.size	fft_rtc_back_len280_factors_8_5_7_wgs_392_tpt_56_dp_ip_CI_sbcc_twdbase5_3step_dirReg_intrinsicRead, .Lfunc_end0-fft_rtc_back_len280_factors_8_5_7_wgs_392_tpt_56_dp_ip_CI_sbcc_twdbase5_3step_dirReg_intrinsicRead
                                        ; -- End function
	.section	.AMDGPU.csdata,"",@progbits
; Kernel info:
; codeLenInByte = 6708
; NumSgprs: 47
; NumVgprs: 62
; ScratchSize: 0
; MemoryBound: 0
; FloatMode: 240
; IeeeMode: 1
; LDSByteSize: 0 bytes/workgroup (compile time only)
; SGPRBlocks: 5
; VGPRBlocks: 15
; NumSGPRsForWavesPerEU: 47
; NumVGPRsForWavesPerEU: 62
; Occupancy: 4
; WaveLimiterHint : 1
; COMPUTE_PGM_RSRC2:SCRATCH_EN: 0
; COMPUTE_PGM_RSRC2:USER_SGPR: 6
; COMPUTE_PGM_RSRC2:TRAP_HANDLER: 0
; COMPUTE_PGM_RSRC2:TGID_X_EN: 1
; COMPUTE_PGM_RSRC2:TGID_Y_EN: 0
; COMPUTE_PGM_RSRC2:TGID_Z_EN: 0
; COMPUTE_PGM_RSRC2:TIDIG_COMP_CNT: 0
	.type	__hip_cuid_67a4f1354587c963,@object ; @__hip_cuid_67a4f1354587c963
	.section	.bss,"aw",@nobits
	.globl	__hip_cuid_67a4f1354587c963
__hip_cuid_67a4f1354587c963:
	.byte	0                               ; 0x0
	.size	__hip_cuid_67a4f1354587c963, 1

	.ident	"AMD clang version 19.0.0git (https://github.com/RadeonOpenCompute/llvm-project roc-6.4.0 25133 c7fe45cf4b819c5991fe208aaa96edf142730f1d)"
	.section	".note.GNU-stack","",@progbits
	.addrsig
	.addrsig_sym __hip_cuid_67a4f1354587c963
	.amdgpu_metadata
---
amdhsa.kernels:
  - .args:
      - .actual_access:  read_only
        .address_space:  global
        .offset:         0
        .size:           8
        .value_kind:     global_buffer
      - .address_space:  global
        .offset:         8
        .size:           8
        .value_kind:     global_buffer
      - .offset:         16
        .size:           8
        .value_kind:     by_value
      - .actual_access:  read_only
        .address_space:  global
        .offset:         24
        .size:           8
        .value_kind:     global_buffer
      - .actual_access:  read_only
        .address_space:  global
        .offset:         32
        .size:           8
        .value_kind:     global_buffer
      - .offset:         40
        .size:           8
        .value_kind:     by_value
      - .actual_access:  read_only
        .address_space:  global
        .offset:         48
        .size:           8
        .value_kind:     global_buffer
      - .actual_access:  read_only
        .address_space:  global
        .offset:         56
        .size:           8
        .value_kind:     global_buffer
      - .offset:         64
        .size:           4
        .value_kind:     by_value
      - .actual_access:  read_only
        .address_space:  global
        .offset:         72
        .size:           8
        .value_kind:     global_buffer
      - .actual_access:  read_only
        .address_space:  global
        .offset:         80
        .size:           8
        .value_kind:     global_buffer
      - .address_space:  global
        .offset:         88
        .size:           8
        .value_kind:     global_buffer
    .group_segment_fixed_size: 0
    .kernarg_segment_align: 8
    .kernarg_segment_size: 96
    .language:       OpenCL C
    .language_version:
      - 2
      - 0
    .max_flat_workgroup_size: 392
    .name:           fft_rtc_back_len280_factors_8_5_7_wgs_392_tpt_56_dp_ip_CI_sbcc_twdbase5_3step_dirReg_intrinsicRead
    .private_segment_fixed_size: 0
    .sgpr_count:     47
    .sgpr_spill_count: 0
    .symbol:         fft_rtc_back_len280_factors_8_5_7_wgs_392_tpt_56_dp_ip_CI_sbcc_twdbase5_3step_dirReg_intrinsicRead.kd
    .uniform_work_group_size: 1
    .uses_dynamic_stack: false
    .vgpr_count:     62
    .vgpr_spill_count: 0
    .wavefront_size: 64
amdhsa.target:   amdgcn-amd-amdhsa--gfx906
amdhsa.version:
  - 1
  - 2
...

	.end_amdgpu_metadata
